;; amdgpu-corpus repo=ROCm/rocFFT kind=compiled arch=gfx906 opt=O3
	.text
	.amdgcn_target "amdgcn-amd-amdhsa--gfx906"
	.amdhsa_code_object_version 6
	.protected	fft_rtc_fwd_len336_factors_6_7_8_wgs_336_tpt_56_sp_ip_CI_sbcc_twdbase6_3step ; -- Begin function fft_rtc_fwd_len336_factors_6_7_8_wgs_336_tpt_56_sp_ip_CI_sbcc_twdbase6_3step
	.globl	fft_rtc_fwd_len336_factors_6_7_8_wgs_336_tpt_56_sp_ip_CI_sbcc_twdbase6_3step
	.p2align	8
	.type	fft_rtc_fwd_len336_factors_6_7_8_wgs_336_tpt_56_sp_ip_CI_sbcc_twdbase6_3step,@function
fft_rtc_fwd_len336_factors_6_7_8_wgs_336_tpt_56_sp_ip_CI_sbcc_twdbase6_3step: ; @fft_rtc_fwd_len336_factors_6_7_8_wgs_336_tpt_56_sp_ip_CI_sbcc_twdbase6_3step
; %bb.0:
	s_load_dwordx8 s[8:15], s[4:5], 0x8
	s_movk_i32 s0, 0xc0
	v_cmp_gt_u32_e32 vcc, s0, v0
	s_and_saveexec_b64 s[0:1], vcc
	s_cbranch_execz .LBB0_2
; %bb.1:
	v_lshlrev_b32_e32 v3, 3, v0
	s_waitcnt lgkmcnt(0)
	global_load_dwordx2 v[1:2], v3, s[8:9]
	v_add_u32_e32 v3, 0, v3
	s_waitcnt vmcnt(0)
	ds_write_b64 v3, v[1:2] offset:16128
.LBB0_2:
	s_or_b64 exec, exec, s[0:1]
	s_waitcnt lgkmcnt(0)
	s_load_dwordx2 s[20:21], s[12:13], 0x8
	s_mov_b32 s7, 0
	s_mov_b64 s[24:25], 0
	s_waitcnt lgkmcnt(0)
	s_add_u32 s0, s20, -1
	s_addc_u32 s1, s21, -1
	s_add_u32 s2, 0, 0xaaa80000
	s_addc_u32 s3, 0, 0xaa
	s_mul_hi_u32 s9, s2, -6
	s_add_i32 s3, s3, 0x2aaaaa00
	s_sub_i32 s9, s9, s2
	s_mul_i32 s18, s3, -6
	s_mul_i32 s8, s2, -6
	s_add_i32 s9, s9, s18
	s_mul_hi_u32 s16, s3, s8
	s_mul_i32 s17, s3, s8
	s_mul_i32 s19, s2, s9
	s_mul_hi_u32 s8, s2, s8
	s_mul_hi_u32 s18, s2, s9
	s_add_u32 s8, s8, s19
	s_addc_u32 s18, 0, s18
	s_add_u32 s8, s8, s17
	s_mul_hi_u32 s19, s3, s9
	s_addc_u32 s8, s18, s16
	s_addc_u32 s16, s19, 0
	s_mul_i32 s9, s3, s9
	s_add_u32 s8, s8, s9
	v_mov_b32_e32 v1, s8
	s_addc_u32 s9, 0, s16
	v_add_co_u32_e32 v1, vcc, s2, v1
	s_cmp_lg_u64 vcc, 0
	s_addc_u32 s2, s3, s9
	v_readfirstlane_b32 s9, v1
	s_mul_i32 s8, s0, s2
	s_mul_hi_u32 s16, s0, s9
	s_mul_hi_u32 s3, s0, s2
	s_add_u32 s8, s16, s8
	s_addc_u32 s3, 0, s3
	s_mul_hi_u32 s17, s1, s9
	s_mul_i32 s9, s1, s9
	s_add_u32 s8, s8, s9
	s_mul_hi_u32 s16, s1, s2
	s_addc_u32 s3, s3, s17
	s_addc_u32 s8, s16, 0
	s_mul_i32 s2, s1, s2
	s_add_u32 s2, s3, s2
	s_addc_u32 s3, 0, s8
	s_add_u32 s8, s2, 1
	s_addc_u32 s9, s3, 0
	s_add_u32 s16, s2, 2
	s_mul_i32 s18, s3, 6
	s_mul_hi_u32 s19, s2, 6
	s_addc_u32 s17, s3, 0
	s_add_i32 s19, s19, s18
	s_mul_i32 s18, s2, 6
	v_mov_b32_e32 v1, s18
	v_sub_co_u32_e32 v1, vcc, s0, v1
	s_cmp_lg_u64 vcc, 0
	s_subb_u32 s0, s1, s19
	v_subrev_co_u32_e32 v2, vcc, 6, v1
	s_cmp_lg_u64 vcc, 0
	s_subb_u32 s1, s0, 0
	v_readfirstlane_b32 s18, v2
	s_cmp_gt_u32 s18, 5
	s_cselect_b32 s18, -1, 0
	s_cmp_eq_u32 s1, 0
	s_cselect_b32 s1, s18, -1
	s_cmp_lg_u32 s1, 0
	s_cselect_b32 s1, s16, s8
	s_cselect_b32 s8, s17, s9
	v_readfirstlane_b32 s9, v1
	s_cmp_gt_u32 s9, 5
	s_cselect_b32 s9, -1, 0
	s_cmp_eq_u32 s0, 0
	s_cselect_b32 s0, s9, -1
	s_cmp_lg_u32 s0, 0
	s_cselect_b32 s1, s1, s2
	s_cselect_b32 s0, s8, s3
	s_add_u32 s22, s1, 1
	s_addc_u32 s23, s0, 0
	v_mov_b32_e32 v1, s22
	v_mov_b32_e32 v2, s23
	v_cmp_lt_u64_e32 vcc, s[6:7], v[1:2]
	s_cbranch_vccnz .LBB0_4
; %bb.3:
	v_cvt_f32_u32_e32 v1, s22
	s_sub_i32 s0, 0, s22
	s_mov_b32 s25, s7
	v_rcp_iflag_f32_e32 v1, v1
	v_mul_f32_e32 v1, 0x4f7ffffe, v1
	v_cvt_u32_f32_e32 v1, v1
	v_readfirstlane_b32 s1, v1
	s_mul_i32 s0, s0, s1
	s_mul_hi_u32 s0, s1, s0
	s_add_i32 s1, s1, s0
	s_mul_hi_u32 s0, s6, s1
	s_mul_i32 s2, s0, s22
	s_sub_i32 s2, s6, s2
	s_add_i32 s1, s0, 1
	s_sub_i32 s3, s2, s22
	s_cmp_ge_u32 s2, s22
	s_cselect_b32 s0, s1, s0
	s_cselect_b32 s2, s3, s2
	s_add_i32 s1, s0, 1
	s_cmp_ge_u32 s2, s22
	s_cselect_b32 s24, s1, s0
.LBB0_4:
	s_mul_i32 s0, s24, s23
	s_mul_hi_u32 s1, s24, s22
	s_load_dwordx2 s[2:3], s[4:5], 0x58
	s_load_dwordx2 s[8:9], s[4:5], 0x0
	s_load_dwordx4 s[16:19], s[14:15], 0x0
	s_add_i32 s1, s1, s0
	s_mul_i32 s0, s24, s22
	s_sub_u32 s36, s6, s0
	s_subb_u32 s0, 0, s1
	s_mul_i32 s0, s0, 6
	s_mul_hi_u32 s33, s36, 6
	s_add_i32 s33, s33, s0
	s_mul_i32 s36, s36, 6
	s_waitcnt lgkmcnt(0)
	s_mul_i32 s0, s18, s33
	s_mul_hi_u32 s1, s18, s36
	s_add_i32 s0, s1, s0
	s_mul_i32 s1, s19, s36
	s_add_i32 s37, s0, s1
	v_cmp_lt_u64_e64 s[0:1], s[10:11], 3
	s_mul_i32 s38, s18, s36
	s_and_b64 vcc, exec, s[0:1]
	s_cbranch_vccnz .LBB0_14
; %bb.5:
	s_add_u32 s4, s14, 16
	s_addc_u32 s5, s15, 0
	s_add_u32 s12, s12, 16
	v_mov_b32_e32 v1, s10
	s_addc_u32 s13, s13, 0
	s_mov_b64 s[26:27], 2
	s_mov_b32 s28, 0
	v_mov_b32_e32 v2, s11
.LBB0_6:                                ; =>This Inner Loop Header: Depth=1
	s_load_dwordx2 s[30:31], s[12:13], 0x0
	s_waitcnt lgkmcnt(0)
	s_or_b64 s[0:1], s[24:25], s[30:31]
	s_mov_b32 s29, s1
	s_cmp_lg_u64 s[28:29], 0
	s_cbranch_scc0 .LBB0_11
; %bb.7:                                ;   in Loop: Header=BB0_6 Depth=1
	v_cvt_f32_u32_e32 v3, s30
	v_cvt_f32_u32_e32 v4, s31
	s_sub_u32 s0, 0, s30
	s_subb_u32 s1, 0, s31
	v_mac_f32_e32 v3, 0x4f800000, v4
	v_rcp_f32_e32 v3, v3
	v_mul_f32_e32 v3, 0x5f7ffffc, v3
	v_mul_f32_e32 v4, 0x2f800000, v3
	v_trunc_f32_e32 v4, v4
	v_mac_f32_e32 v3, 0xcf800000, v4
	v_cvt_u32_f32_e32 v4, v4
	v_cvt_u32_f32_e32 v3, v3
	v_readfirstlane_b32 s29, v4
	v_readfirstlane_b32 s34, v3
	s_mul_i32 s35, s0, s29
	s_mul_hi_u32 s40, s0, s34
	s_mul_i32 s39, s1, s34
	s_add_i32 s35, s40, s35
	s_mul_i32 s41, s0, s34
	s_add_i32 s35, s35, s39
	s_mul_hi_u32 s39, s34, s35
	s_mul_i32 s40, s34, s35
	s_mul_hi_u32 s34, s34, s41
	s_add_u32 s34, s34, s40
	s_addc_u32 s39, 0, s39
	s_mul_hi_u32 s42, s29, s41
	s_mul_i32 s41, s29, s41
	s_add_u32 s34, s34, s41
	s_mul_hi_u32 s40, s29, s35
	s_addc_u32 s34, s39, s42
	s_addc_u32 s39, s40, 0
	s_mul_i32 s35, s29, s35
	s_add_u32 s34, s34, s35
	s_addc_u32 s35, 0, s39
	v_add_co_u32_e32 v3, vcc, s34, v3
	s_cmp_lg_u64 vcc, 0
	s_addc_u32 s29, s29, s35
	v_readfirstlane_b32 s35, v3
	s_mul_i32 s34, s0, s29
	s_mul_hi_u32 s39, s0, s35
	s_add_i32 s34, s39, s34
	s_mul_i32 s1, s1, s35
	s_add_i32 s34, s34, s1
	s_mul_i32 s0, s0, s35
	s_mul_hi_u32 s39, s29, s0
	s_mul_i32 s40, s29, s0
	s_mul_i32 s42, s35, s34
	s_mul_hi_u32 s0, s35, s0
	s_mul_hi_u32 s41, s35, s34
	s_add_u32 s0, s0, s42
	s_addc_u32 s35, 0, s41
	s_add_u32 s0, s0, s40
	s_mul_hi_u32 s1, s29, s34
	s_addc_u32 s0, s35, s39
	s_addc_u32 s1, s1, 0
	s_mul_i32 s34, s29, s34
	s_add_u32 s0, s0, s34
	s_addc_u32 s1, 0, s1
	v_add_co_u32_e32 v3, vcc, s0, v3
	s_cmp_lg_u64 vcc, 0
	s_addc_u32 s0, s29, s1
	v_readfirstlane_b32 s34, v3
	s_mul_i32 s29, s24, s0
	s_mul_hi_u32 s35, s24, s34
	s_mul_hi_u32 s1, s24, s0
	s_add_u32 s29, s35, s29
	s_addc_u32 s1, 0, s1
	s_mul_hi_u32 s39, s25, s34
	s_mul_i32 s34, s25, s34
	s_add_u32 s29, s29, s34
	s_mul_hi_u32 s35, s25, s0
	s_addc_u32 s1, s1, s39
	s_addc_u32 s29, s35, 0
	s_mul_i32 s0, s25, s0
	s_add_u32 s34, s1, s0
	s_addc_u32 s29, 0, s29
	s_mul_i32 s0, s30, s29
	s_mul_hi_u32 s1, s30, s34
	s_add_i32 s0, s1, s0
	s_mul_i32 s1, s31, s34
	s_add_i32 s35, s0, s1
	s_mul_i32 s1, s30, s34
	v_mov_b32_e32 v3, s1
	s_sub_i32 s0, s25, s35
	v_sub_co_u32_e32 v3, vcc, s24, v3
	s_cmp_lg_u64 vcc, 0
	s_subb_u32 s39, s0, s31
	v_subrev_co_u32_e64 v4, s[0:1], s30, v3
	s_cmp_lg_u64 s[0:1], 0
	s_subb_u32 s0, s39, 0
	s_cmp_ge_u32 s0, s31
	v_readfirstlane_b32 s39, v4
	s_cselect_b32 s1, -1, 0
	s_cmp_ge_u32 s39, s30
	s_cselect_b32 s39, -1, 0
	s_cmp_eq_u32 s0, s31
	s_cselect_b32 s0, s39, s1
	s_add_u32 s1, s34, 1
	s_addc_u32 s39, s29, 0
	s_add_u32 s40, s34, 2
	s_addc_u32 s41, s29, 0
	s_cmp_lg_u32 s0, 0
	s_cselect_b32 s0, s40, s1
	s_cselect_b32 s1, s41, s39
	s_cmp_lg_u64 vcc, 0
	s_subb_u32 s35, s25, s35
	s_cmp_ge_u32 s35, s31
	v_readfirstlane_b32 s40, v3
	s_cselect_b32 s39, -1, 0
	s_cmp_ge_u32 s40, s30
	s_cselect_b32 s40, -1, 0
	s_cmp_eq_u32 s35, s31
	s_cselect_b32 s35, s40, s39
	s_cmp_lg_u32 s35, 0
	s_cselect_b32 s1, s1, s29
	s_cselect_b32 s0, s0, s34
	s_cbranch_execnz .LBB0_9
.LBB0_8:                                ;   in Loop: Header=BB0_6 Depth=1
	v_cvt_f32_u32_e32 v3, s30
	s_sub_i32 s0, 0, s30
	v_rcp_iflag_f32_e32 v3, v3
	v_mul_f32_e32 v3, 0x4f7ffffe, v3
	v_cvt_u32_f32_e32 v3, v3
	v_readfirstlane_b32 s1, v3
	s_mul_i32 s0, s0, s1
	s_mul_hi_u32 s0, s1, s0
	s_add_i32 s1, s1, s0
	s_mul_hi_u32 s0, s24, s1
	s_mul_i32 s29, s0, s30
	s_sub_i32 s29, s24, s29
	s_add_i32 s1, s0, 1
	s_sub_i32 s34, s29, s30
	s_cmp_ge_u32 s29, s30
	s_cselect_b32 s0, s1, s0
	s_cselect_b32 s29, s34, s29
	s_add_i32 s1, s0, 1
	s_cmp_ge_u32 s29, s30
	s_cselect_b32 s0, s1, s0
	s_mov_b32 s1, s28
.LBB0_9:                                ;   in Loop: Header=BB0_6 Depth=1
	s_mul_i32 s23, s30, s23
	s_mul_hi_u32 s29, s30, s22
	s_add_i32 s23, s29, s23
	s_mul_i32 s29, s31, s22
	s_add_i32 s23, s23, s29
	s_mul_i32 s29, s0, s31
	s_mul_hi_u32 s31, s0, s30
	s_load_dwordx2 s[34:35], s[4:5], 0x0
	s_add_i32 s29, s31, s29
	s_mul_i32 s31, s1, s30
	s_mul_i32 s22, s30, s22
	s_add_i32 s29, s29, s31
	s_mul_i32 s30, s0, s30
	s_sub_u32 s24, s24, s30
	s_subb_u32 s25, s25, s29
	s_waitcnt lgkmcnt(0)
	s_mul_i32 s25, s34, s25
	s_mul_hi_u32 s29, s34, s24
	s_add_i32 s25, s29, s25
	s_mul_i32 s29, s35, s24
	s_add_i32 s25, s25, s29
	s_mul_i32 s24, s34, s24
	s_add_u32 s38, s24, s38
	s_addc_u32 s37, s25, s37
	s_add_u32 s26, s26, 1
	s_addc_u32 s27, s27, 0
	;; [unrolled: 2-line block ×3, first 2 shown]
	v_cmp_ge_u64_e32 vcc, s[26:27], v[1:2]
	s_add_u32 s12, s12, 8
	s_addc_u32 s13, s13, 0
	s_cbranch_vccnz .LBB0_12
; %bb.10:                               ;   in Loop: Header=BB0_6 Depth=1
	s_mov_b64 s[24:25], s[0:1]
	s_branch .LBB0_6
.LBB0_11:                               ;   in Loop: Header=BB0_6 Depth=1
                                        ; implicit-def: $sgpr0_sgpr1
	s_branch .LBB0_8
.LBB0_12:
	v_mov_b32_e32 v1, s22
	v_mov_b32_e32 v2, s23
	v_cmp_lt_u64_e32 vcc, s[6:7], v[1:2]
	s_mov_b64 s[24:25], 0
	s_cbranch_vccnz .LBB0_14
; %bb.13:
	v_cvt_f32_u32_e32 v1, s22
	s_sub_i32 s0, 0, s22
	v_rcp_iflag_f32_e32 v1, v1
	v_mul_f32_e32 v1, 0x4f7ffffe, v1
	v_cvt_u32_f32_e32 v1, v1
	v_readfirstlane_b32 s1, v1
	s_mul_i32 s0, s0, s1
	s_mul_hi_u32 s0, s1, s0
	s_add_i32 s1, s1, s0
	s_mul_hi_u32 s0, s6, s1
	s_mul_i32 s4, s0, s22
	s_sub_i32 s4, s6, s4
	s_add_i32 s1, s0, 1
	s_sub_i32 s5, s4, s22
	s_cmp_ge_u32 s4, s22
	s_cselect_b32 s0, s1, s0
	s_cselect_b32 s4, s5, s4
	s_add_i32 s1, s0, 1
	s_cmp_ge_u32 s4, s22
	s_cselect_b32 s24, s1, s0
.LBB0_14:
	s_lshl_b64 s[0:1], s[10:11], 3
	s_add_u32 s0, s14, s0
	s_addc_u32 s1, s15, s1
	s_load_dwordx2 s[0:1], s[0:1], 0x0
	s_mov_b32 s4, 0x2aaaaaab
	v_mul_hi_u32 v64, v0, s4
	v_mov_b32_e32 v1, s20
	v_mov_b32_e32 v2, s21
	s_waitcnt lgkmcnt(0)
	s_mul_i32 s1, s1, s24
	s_mul_hi_u32 s4, s0, s24
	s_mul_i32 s0, s0, s24
	s_add_i32 s1, s4, s1
	s_add_u32 s4, s0, s38
	s_addc_u32 s5, s1, s37
	s_add_u32 s0, s36, 6
	s_addc_u32 s1, s33, 0
	v_cmp_le_u64_e32 vcc, s[0:1], v[1:2]
	v_mul_u32_u24_e32 v1, 6, v64
	v_sub_u32_e32 v66, v0, v1
	v_mov_b32_e32 v2, s33
	v_add_co_u32_e64 v1, s[0:1], s36, v66
	v_addc_co_u32_e64 v2, s[0:1], 0, v2, s[0:1]
	v_cmp_gt_u64_e64 s[0:1], s[20:21], v[1:2]
	v_lshlrev_b32_e32 v67, 3, v64
	s_or_b64 s[0:1], vcc, s[0:1]
	v_add_u32_e32 v65, 56, v64
	s_and_saveexec_b64 s[6:7], s[0:1]
	s_cbranch_execz .LBB0_16
; %bb.15:
	v_mad_u64_u32 v[1:2], s[10:11], s18, v66, 0
	v_mad_u64_u32 v[3:4], s[10:11], s16, v64, 0
	v_add_u32_e32 v9, 0x70, v64
	v_add_u32_e32 v11, 0xa8, v64
	v_mad_u64_u32 v[5:6], s[10:11], s19, v66, v[2:3]
	v_mov_b32_e32 v2, v4
	v_mad_u64_u32 v[6:7], s[10:11], s17, v64, v[2:3]
	s_lshl_b64 s[10:11], s[4:5], 3
	s_add_u32 s12, s2, s10
	s_addc_u32 s10, s3, s11
	v_mov_b32_e32 v2, v5
	v_mov_b32_e32 v4, v6
	;; [unrolled: 1-line block ×3, first 2 shown]
	v_mad_u64_u32 v[5:6], s[10:11], s16, v65, 0
	v_lshlrev_b64 v[1:2], 3, v[1:2]
	v_add_u32_e32 v23, 0x118, v64
	v_add_co_u32_e32 v21, vcc, s12, v1
	v_addc_co_u32_e32 v22, vcc, v7, v2, vcc
	v_lshlrev_b64 v[1:2], 3, v[3:4]
	v_mov_b32_e32 v3, v6
	v_mad_u64_u32 v[3:4], s[10:11], s17, v65, v[3:4]
	v_mad_u64_u32 v[7:8], s[10:11], s16, v9, 0
	v_mov_b32_e32 v6, v3
	v_lshlrev_b64 v[3:4], 3, v[5:6]
	v_mov_b32_e32 v5, v8
	v_mad_u64_u32 v[5:6], s[10:11], s17, v9, v[5:6]
	v_mad_u64_u32 v[9:10], s[10:11], s16, v11, 0
	v_mov_b32_e32 v8, v5
	v_lshlrev_b64 v[5:6], 3, v[7:8]
	v_mov_b32_e32 v7, v10
	v_mad_u64_u32 v[7:8], s[10:11], s17, v11, v[7:8]
	v_add_u32_e32 v11, 0xe0, v64
	v_add_co_u32_e32 v1, vcc, v21, v1
	v_mov_b32_e32 v10, v7
	v_lshlrev_b64 v[7:8], 3, v[9:10]
	v_mad_u64_u32 v[9:10], s[10:11], s16, v11, 0
	v_addc_co_u32_e32 v2, vcc, v22, v2, vcc
	v_add_co_u32_e32 v3, vcc, v21, v3
	v_mad_u64_u32 v[10:11], s[10:11], s17, v11, v[10:11]
	v_addc_co_u32_e32 v4, vcc, v22, v4, vcc
	v_mad_u64_u32 v[11:12], s[10:11], s16, v23, 0
	v_add_co_u32_e32 v5, vcc, v21, v5
	v_addc_co_u32_e32 v6, vcc, v22, v6, vcc
	v_add_co_u32_e32 v7, vcc, v21, v7
	v_addc_co_u32_e32 v8, vcc, v22, v8, vcc
	global_load_dwordx2 v[13:14], v[1:2], off
	global_load_dwordx2 v[15:16], v[3:4], off
	;; [unrolled: 1-line block ×4, first 2 shown]
	v_mov_b32_e32 v3, v12
	v_mad_u64_u32 v[3:4], s[10:11], s17, v23, v[3:4]
	v_lshlrev_b64 v[1:2], 3, v[9:10]
	s_movk_i32 s10, 0xa80
	v_mov_b32_e32 v12, v3
	v_add_co_u32_e32 v1, vcc, v21, v1
	v_lshlrev_b64 v[3:4], 3, v[11:12]
	v_addc_co_u32_e32 v2, vcc, v22, v2, vcc
	v_add_co_u32_e32 v3, vcc, v21, v3
	v_addc_co_u32_e32 v4, vcc, v22, v4, vcc
	global_load_dwordx2 v[5:6], v[1:2], off
	global_load_dwordx2 v[7:8], v[3:4], off
	v_mul_lo_u32 v1, v66, s10
	v_add3_u32 v1, 0, v1, v67
	s_waitcnt vmcnt(4)
	ds_write2_b64 v1, v[13:14], v[15:16] offset1:56
	s_waitcnt vmcnt(2)
	ds_write2_b64 v1, v[17:18], v[19:20] offset0:112 offset1:168
	v_add_u32_e32 v1, 0x400, v1
	s_waitcnt vmcnt(0)
	ds_write2_b64 v1, v[5:6], v[7:8] offset0:96 offset1:152
.LBB0_16:
	s_or_b64 exec, exec, s[6:7]
	s_mov_b32 s6, 0x4924925
	v_mul_hi_u32 v5, v0, s6
	s_add_u32 s6, 0, 0xaaa80000
	s_addc_u32 s7, 0, 0xaa
	s_add_i32 s7, s7, 0x2aaaaa00
	s_mul_hi_u32 s13, s6, -6
	s_sub_i32 s13, s13, s6
	s_mul_i32 s14, s7, -6
	s_mul_i32 s10, s6, -6
	s_add_i32 s13, s13, s14
	s_mul_hi_u32 s11, s7, s10
	s_mul_i32 s12, s7, s10
	s_mul_i32 s15, s6, s13
	s_mul_hi_u32 s10, s6, s10
	s_mul_hi_u32 s14, s6, s13
	s_add_u32 s10, s10, s15
	s_addc_u32 s14, 0, s14
	s_add_u32 s10, s10, s12
	s_mul_hi_u32 s15, s7, s13
	s_addc_u32 s10, s14, s11
	s_addc_u32 s11, s15, 0
	s_mul_i32 s12, s7, s13
	v_mov_b32_e32 v1, s33
	v_add_co_u32_e32 v14, vcc, s36, v5
	s_add_u32 s10, s10, s12
	v_addc_co_u32_e32 v6, vcc, 0, v1, vcc
	v_mov_b32_e32 v1, s10
	s_addc_u32 s11, 0, s11
	v_add_co_u32_e32 v3, vcc, s6, v1
	s_cmp_lg_u64 vcc, 0
	s_addc_u32 s10, s7, s11
	v_mad_u64_u32 v[1:2], s[6:7], v14, s10, 0
	v_mul_hi_u32 v4, v14, v3
	s_waitcnt lgkmcnt(0)
	s_barrier
	v_add_co_u32_e32 v7, vcc, v4, v1
	v_addc_co_u32_e32 v8, vcc, 0, v2, vcc
	v_mad_u64_u32 v[1:2], s[6:7], v6, v3, 0
	v_mad_u64_u32 v[3:4], s[6:7], v6, s10, 0
	v_add_co_u32_e32 v1, vcc, v7, v1
	v_addc_co_u32_e32 v1, vcc, v8, v2, vcc
	v_addc_co_u32_e32 v2, vcc, 0, v4, vcc
	v_add_co_u32_e32 v1, vcc, v1, v3
	v_addc_co_u32_e32 v3, vcc, 0, v2, vcc
	v_mad_u64_u32 v[1:2], s[6:7], v1, 6, 0
	v_mad_u64_u32 v[2:3], s[6:7], v3, 6, v[2:3]
	v_sub_co_u32_e32 v1, vcc, v14, v1
	v_subb_co_u32_e32 v2, vcc, v6, v2, vcc
	v_subrev_co_u32_e32 v3, vcc, 6, v1
	v_subbrev_co_u32_e32 v4, vcc, 0, v2, vcc
	v_cmp_lt_u32_e32 vcc, 5, v3
	v_cndmask_b32_e64 v6, 0, -1, vcc
	v_cmp_eq_u32_e32 vcc, 0, v4
	v_cndmask_b32_e32 v4, -1, v6, vcc
	v_add_u32_e32 v6, -6, v3
	v_cmp_ne_u32_e32 vcc, 0, v4
	v_cndmask_b32_e32 v3, v3, v6, vcc
	v_cmp_lt_u32_e32 vcc, 5, v1
	v_cndmask_b32_e64 v4, 0, -1, vcc
	v_cmp_eq_u32_e32 vcc, 0, v2
	v_cndmask_b32_e32 v2, -1, v4, vcc
	v_cmp_ne_u32_e32 vcc, 0, v2
	v_cndmask_b32_e32 v1, v1, v3, vcc
	v_mul_u32_u24_e32 v2, 56, v5
	v_mul_u32_u24_e32 v1, 0x150, v1
	v_sub_u32_e32 v15, v0, v2
	v_lshlrev_b32_e32 v16, 3, v1
	v_lshlrev_b32_e32 v0, 3, v15
	v_add3_u32 v68, 0, v0, v16
	v_add3_u32 v69, 0, v16, v0
	ds_read2_b64 v[0:3], v68 offset0:56 offset1:112
	ds_read_b64 v[17:18], v69
	ds_read2_b64 v[4:7], v68 offset0:168 offset1:224
	ds_read_b64 v[8:9], v68 offset:2240
	v_cmp_gt_u32_e32 vcc, 48, v15
	s_waitcnt lgkmcnt(0)
	v_add_f32_e32 v13, v18, v3
	v_sub_f32_e32 v12, v3, v7
	v_add_f32_e32 v3, v3, v7
	v_add_f32_e32 v19, v4, v8
	v_fmac_f32_e32 v18, -0.5, v3
	v_add_f32_e32 v10, v17, v2
	v_add_f32_e32 v11, v2, v6
	v_fma_f32 v19, -0.5, v19, v0
	v_add_f32_e32 v20, v5, v9
	v_sub_f32_e32 v2, v2, v6
	v_add_f32_e32 v0, v0, v4
	v_mov_b32_e32 v3, v18
	v_fma_f32 v20, -0.5, v20, v1
	v_add_f32_e32 v1, v1, v5
	v_fmac_f32_e32 v3, 0xbf5db3d7, v2
	v_fmac_f32_e32 v18, 0x3f5db3d7, v2
	v_add_f32_e32 v2, v0, v8
	v_sub_f32_e32 v0, v5, v9
	v_mov_b32_e32 v5, v19
	v_fmac_f32_e32 v5, 0x3f5db3d7, v0
	v_fmac_f32_e32 v19, 0xbf5db3d7, v0
	v_add_f32_e32 v9, v1, v9
	v_sub_f32_e32 v0, v4, v8
	v_mov_b32_e32 v1, v20
	v_fma_f32 v17, -0.5, v11, v17
	v_add_f32_e32 v7, v13, v7
	v_fmac_f32_e32 v1, 0xbf5db3d7, v0
	v_fmac_f32_e32 v20, 0x3f5db3d7, v0
	v_mul_f32_e32 v13, -0.5, v19
	v_mov_b32_e32 v21, v17
	v_mul_f32_e32 v8, 0x3f5db3d7, v1
	v_fmac_f32_e32 v13, 0x3f5db3d7, v20
	v_mul_f32_e32 v22, 0xbf5db3d7, v5
	v_mul_f32_e32 v20, -0.5, v20
	v_add_f32_e32 v6, v10, v6
	v_fmac_f32_e32 v21, 0x3f5db3d7, v12
	v_fmac_f32_e32 v17, 0xbf5db3d7, v12
	v_fmac_f32_e32 v8, 0.5, v5
	v_fmac_f32_e32 v22, 0.5, v1
	v_fmac_f32_e32 v20, 0xbf5db3d7, v19
	v_add_f32_e32 v4, v6, v2
	v_add_f32_e32 v0, v21, v8
	;; [unrolled: 1-line block ×6, first 2 shown]
	v_sub_f32_e32 v12, v6, v2
	v_sub_f32_e32 v8, v21, v8
	;; [unrolled: 1-line block ×6, first 2 shown]
	v_mad_i32_i24 v2, v15, 40, v68
	s_barrier
	ds_write2_b64 v2, v[4:5], v[0:1] offset1:1
	ds_write2_b64 v2, v[10:11], v[12:13] offset0:2 offset1:3
	ds_write2_b64 v2, v[8:9], v[6:7] offset0:4 offset1:5
	s_waitcnt lgkmcnt(0)
	s_barrier
	s_waitcnt lgkmcnt(0)
                                        ; implicit-def: $vgpr3
	s_and_saveexec_b64 s[6:7], vcc
	s_cbranch_execz .LBB0_18
; %bb.17:
	v_add_u32_e32 v0, 0x400, v68
	ds_read2_b64 v[0:3], v0 offset0:112 offset1:160
	ds_read2_b64 v[10:13], v68 offset0:144 offset1:192
	ds_read_b64 v[4:5], v69
	ds_read2_b64 v[17:20], v68 offset0:48 offset1:96
	s_waitcnt lgkmcnt(3)
	v_mov_b32_e32 v7, v1
	v_mov_b32_e32 v6, v0
	s_waitcnt lgkmcnt(2)
	v_mov_b32_e32 v9, v13
	v_mov_b32_e32 v8, v12
	;; [unrolled: 1-line block ×4, first 2 shown]
	s_waitcnt lgkmcnt(0)
	v_mov_b32_e32 v11, v20
	v_mov_b32_e32 v10, v19
	;; [unrolled: 1-line block ×4, first 2 shown]
.LBB0_18:
	s_or_b64 exec, exec, s[6:7]
	s_movk_i32 s6, 0xab
	v_mul_lo_u16_sdwa v17, v15, s6 dst_sel:DWORD dst_unused:UNUSED_PAD src0_sel:BYTE_0 src1_sel:DWORD
	v_lshrrev_b16_e32 v17, 10, v17
	v_mul_lo_u16_e32 v18, 6, v17
	v_sub_u16_e32 v18, v15, v18
	v_mov_b32_e32 v19, 6
	v_mul_u32_u24_sdwa v19, v18, v19 dst_sel:DWORD dst_unused:UNUSED_PAD src0_sel:BYTE_0 src1_sel:DWORD
	v_lshlrev_b32_e32 v31, 3, v19
	global_load_dwordx4 v[19:22], v31, s[8:9]
	global_load_dwordx4 v[23:26], v31, s[8:9] offset:16
	global_load_dwordx4 v[27:30], v31, s[8:9] offset:32
	s_mov_b32 s6, 0x3f5ff5aa
	s_mov_b32 s7, 0x3f3bfb3b
	;; [unrolled: 1-line block ×4, first 2 shown]
	s_waitcnt vmcnt(0)
	s_barrier
	v_mul_f32_e32 v31, v1, v20
	v_mul_f32_e32 v20, v0, v20
	;; [unrolled: 1-line block ×12, first 2 shown]
	v_fma_f32 v0, v0, v19, -v31
	v_fmac_f32_e32 v20, v1, v19
	v_fma_f32 v1, v10, v21, -v32
	v_fmac_f32_e32 v22, v11, v21
	;; [unrolled: 2-line block ×6, first 2 shown]
	v_add_f32_e32 v6, v0, v2
	v_add_f32_e32 v7, v20, v30
	;; [unrolled: 1-line block ×4, first 2 shown]
	v_sub_f32_e32 v0, v0, v2
	v_sub_f32_e32 v2, v20, v30
	;; [unrolled: 1-line block ×4, first 2 shown]
	v_add_f32_e32 v12, v10, v8
	v_add_f32_e32 v13, v24, v26
	v_sub_f32_e32 v8, v8, v10
	v_sub_f32_e32 v10, v26, v24
	v_add_f32_e32 v19, v9, v6
	v_add_f32_e32 v20, v11, v7
	v_sub_f32_e32 v21, v9, v6
	v_sub_f32_e32 v22, v11, v7
	;; [unrolled: 1-line block ×6, first 2 shown]
	v_add_f32_e32 v23, v8, v1
	v_add_f32_e32 v24, v10, v3
	v_sub_f32_e32 v25, v8, v1
	v_sub_f32_e32 v26, v10, v3
	v_add_f32_e32 v19, v12, v19
	v_add_f32_e32 v20, v13, v20
	v_sub_f32_e32 v8, v0, v8
	v_sub_f32_e32 v10, v2, v10
	v_sub_f32_e32 v1, v1, v0
	v_sub_f32_e32 v3, v3, v2
	v_add_f32_e32 v0, v23, v0
	v_add_f32_e32 v2, v24, v2
	v_mul_f32_e32 v6, 0x3f4a47b2, v6
	v_mul_f32_e32 v7, 0x3f4a47b2, v7
	;; [unrolled: 1-line block ×6, first 2 shown]
	v_add_f32_e32 v12, v4, v19
	v_add_f32_e32 v13, v5, v20
	v_mul_f32_e32 v27, 0x3f5ff5aa, v1
	v_mul_f32_e32 v28, 0x3f5ff5aa, v3
	v_fma_f32 v4, v21, s7, -v23
	v_fma_f32 v5, v21, s10, -v6
	v_fmac_f32_e32 v6, 0x3d64c772, v9
	v_fma_f32 v9, v22, s7, -v24
	v_fma_f32 v21, v22, s10, -v7
	v_fmac_f32_e32 v7, 0x3d64c772, v11
	v_fma_f32 v11, v1, s6, -v25
	v_fma_f32 v1, v3, s6, -v26
	v_mov_b32_e32 v3, v12
	v_mov_b32_e32 v22, v13
	v_fmac_f32_e32 v25, 0x3eae86e6, v8
	v_fmac_f32_e32 v26, 0x3eae86e6, v10
	;; [unrolled: 1-line block ×4, first 2 shown]
	v_fma_f32 v19, v8, s11, -v27
	v_fma_f32 v20, v10, s11, -v28
	v_add_f32_e32 v6, v6, v3
	v_add_f32_e32 v7, v7, v22
	;; [unrolled: 1-line block ×6, first 2 shown]
	v_fmac_f32_e32 v25, 0x3ee1c552, v0
	v_fmac_f32_e32 v26, 0x3ee1c552, v2
	;; [unrolled: 1-line block ×6, first 2 shown]
	v_sub_f32_e32 v8, v4, v1
	v_add_f32_e32 v10, v1, v4
	v_add_f32_e32 v0, v26, v6
	v_sub_f32_e32 v1, v7, v25
	v_add_f32_e32 v2, v20, v5
	v_sub_f32_e32 v3, v21, v19
	;; [unrolled: 2-line block ×3, first 2 shown]
	v_sub_f32_e32 v4, v5, v20
	v_add_f32_e32 v5, v19, v21
	v_sub_f32_e32 v6, v6, v26
	v_add_f32_e32 v7, v25, v7
	s_and_saveexec_b64 s[6:7], vcc
	s_cbranch_execz .LBB0_20
; %bb.19:
	s_movk_i32 s10, 0x150
	v_mov_b32_e32 v19, 3
	v_mad_u32_u24 v17, v17, s10, 0
	v_lshlrev_b32_sdwa v18, v19, v18 dst_sel:DWORD dst_unused:UNUSED_PAD src0_sel:DWORD src1_sel:BYTE_0
	v_add3_u32 v16, v17, v18, v16
	ds_write2_b64 v16, v[12:13], v[0:1] offset1:6
	ds_write2_b64 v16, v[2:3], v[8:9] offset0:12 offset1:18
	ds_write2_b64 v16, v[10:11], v[4:5] offset0:24 offset1:30
	ds_write_b64 v16, v[6:7] offset:288
.LBB0_20:
	s_or_b64 exec, exec, s[6:7]
	v_cmp_gt_u32_e32 vcc, 42, v15
	s_waitcnt lgkmcnt(0)
	s_barrier
	s_waitcnt lgkmcnt(0)
                                        ; implicit-def: $vgpr23
	s_and_saveexec_b64 s[6:7], vcc
	s_cbranch_execz .LBB0_22
; %bb.21:
	ds_read2_b64 v[0:3], v68 offset0:42 offset1:84
	ds_read2_b64 v[8:11], v68 offset0:126 offset1:168
	;; [unrolled: 1-line block ×3, first 2 shown]
	ds_read_b64 v[12:13], v69
	ds_read_b64 v[22:23], v68 offset:2352
.LBB0_22:
	s_or_b64 exec, exec, s[6:7]
	v_subrev_u32_e32 v16, 42, v15
	v_cndmask_b32_e32 v70, v16, v15, vcc
	v_mul_lo_u32 v15, v70, v14
	v_mul_lo_u32 v24, v14, 42
	s_add_i32 s6, 0, 0x3f00
	v_and_b32_e32 v16, 63, v15
	v_add_u32_e32 v25, v15, v24
	v_lshrrev_b32_e32 v27, 9, v25
	v_lshrrev_b32_e32 v17, 3, v15
	;; [unrolled: 1-line block ×3, first 2 shown]
	v_and_b32_e32 v15, 63, v25
	v_lshrrev_b32_e32 v26, 3, v25
	v_and_b32_e32 v27, 0x1f8, v27
	v_add_u32_e32 v25, v25, v24
	v_add_u32_e32 v28, s6, v27
	v_and_b32_e32 v27, 63, v25
	v_lshl_add_u32 v29, v27, 3, 0
	v_lshrrev_b32_e32 v27, 3, v25
	v_and_b32_e32 v27, 0x1f8, v27
	v_add_u32_e32 v32, s6, v27
	v_lshrrev_b32_e32 v27, 9, v25
	v_and_b32_e32 v27, 0x1f8, v27
	v_add_u32_e32 v25, v25, v24
	v_add_u32_e32 v34, s6, v27
	v_and_b32_e32 v27, 63, v25
	v_lshl_add_u32 v35, v27, 3, 0
	v_lshrrev_b32_e32 v27, 3, v25
	v_and_b32_e32 v27, 0x1f8, v27
	v_add_u32_e32 v38, s6, v27
	;; [unrolled: 9-line block ×5, first 2 shown]
	v_add_u32_e32 v54, s6, v27
	v_lshrrev_b32_e32 v27, 9, v25
	v_and_b32_e32 v25, 63, v24
	v_lshl_add_u32 v60, v25, 3, 0
	v_lshrrev_b32_e32 v25, 3, v24
	v_and_b32_e32 v17, 0x1f8, v17
	v_and_b32_e32 v14, 0x1f8, v14
	v_and_b32_e32 v26, 0x1f8, v26
	v_and_b32_e32 v27, 0x1f8, v27
	v_and_b32_e32 v25, 0x1f8, v25
	v_lshrrev_b32_e32 v24, 9, v24
	v_lshl_add_u32 v16, v16, 3, 0
	v_add_u32_e32 v18, s6, v17
	v_add_u32_e32 v14, s6, v14
	v_lshl_add_u32 v20, v15, 3, 0
	v_add_u32_e32 v26, s6, v26
	v_add_u32_e32 v55, s6, v27
	;; [unrolled: 1-line block ×3, first 2 shown]
	v_and_b32_e32 v24, 0x1f8, v24
	ds_read_b64 v[16:17], v16 offset:16128
	ds_read_b64 v[18:19], v18 offset:512
	;; [unrolled: 1-line block ×4, first 2 shown]
	v_add_u32_e32 v71, s6, v24
	ds_read_b64 v[26:27], v26 offset:512
	ds_read_b64 v[24:25], v28 offset:1024
	;; [unrolled: 1-line block ×20, first 2 shown]
	s_waitcnt lgkmcnt(0)
	s_barrier
	s_and_saveexec_b64 s[6:7], vcc
	s_cbranch_execz .LBB0_24
; %bb.23:
	v_mul_i32_i24_e32 v70, 7, v70
	v_mov_b32_e32 v71, 0
	v_lshlrev_b64 v[70:71], 3, v[70:71]
	v_mov_b32_e32 v72, s9
	v_add_co_u32_e32 v78, vcc, s8, v70
	v_addc_co_u32_e32 v79, vcc, v72, v71, vcc
	v_mul_f32_e32 v70, v61, v63
	v_mul_f32_e32 v81, v60, v63
	v_fma_f32 v80, v60, v62, -v70
	v_fmac_f32_e32 v81, v61, v62
	global_load_dwordx4 v[60:63], v[78:79], off offset:288
	global_load_dwordx4 v[70:73], v[78:79], off offset:320
	;; [unrolled: 1-line block ×3, first 2 shown]
	s_nop 0
	global_load_dwordx2 v[78:79], v[78:79], off offset:336
	v_mul_f32_e32 v82, v57, v59
	v_mul_f32_e32 v59, v56, v59
	v_fmac_f32_e32 v59, v57, v58
	v_fma_f32 v56, v56, v58, -v82
	v_mul_f32_e32 v57, v81, v55
	v_mul_f32_e32 v55, v80, v55
	;; [unrolled: 1-line block ×4, first 2 shown]
	v_fma_f32 v57, v54, v80, -v57
	v_fmac_f32_e32 v55, v54, v81
	v_fma_f32 v54, v52, v56, -v58
	v_fmac_f32_e32 v53, v52, v59
	s_waitcnt vmcnt(3)
	v_mul_f32_e32 v52, v1, v61
	s_waitcnt vmcnt(2)
	v_mul_f32_e32 v56, v5, v71
	;; [unrolled: 2-line block ×3, first 2 shown]
	v_mul_f32_e32 v80, v10, v77
	v_mul_f32_e32 v77, v11, v77
	;; [unrolled: 1-line block ×3, first 2 shown]
	v_fmac_f32_e32 v58, v9, v74
	v_fmac_f32_e32 v80, v11, v76
	v_fma_f32 v9, v10, v76, -v77
	v_mul_f32_e32 v10, v0, v61
	v_mul_f32_e32 v11, v4, v71
	;; [unrolled: 1-line block ×4, first 2 shown]
	s_waitcnt vmcnt(0)
	v_mul_f32_e32 v59, v22, v79
	v_mul_f32_e32 v79, v23, v79
	v_mul_f32_e32 v63, v2, v63
	v_mul_f32_e32 v73, v6, v73
	v_fmac_f32_e32 v10, v1, v60
	v_fma_f32 v1, v2, v62, -v61
	v_fma_f32 v2, v6, v72, -v71
	;; [unrolled: 1-line block ×6, first 2 shown]
	v_fmac_f32_e32 v11, v5, v70
	v_fmac_f32_e32 v63, v3, v62
	;; [unrolled: 1-line block ×3, first 2 shown]
	v_sub_f32_e32 v2, v1, v2
	v_sub_f32_e32 v7, v13, v80
	v_fmac_f32_e32 v59, v23, v78
	v_sub_f32_e32 v4, v0, v4
	v_sub_f32_e32 v5, v8, v22
	;; [unrolled: 1-line block ×5, first 2 shown]
	v_add_f32_e32 v52, v7, v2
	v_sub_f32_e32 v3, v58, v59
	v_add_f32_e32 v23, v6, v5
	v_sub_f32_e32 v56, v9, v11
	v_fma_f32 v59, v0, 2.0, -v4
	v_fma_f32 v0, v8, 2.0, -v5
	;; [unrolled: 1-line block ×4, first 2 shown]
	v_mov_b32_e32 v12, v52
	v_sub_f32_e32 v22, v4, v3
	v_fma_f32 v8, v13, 2.0, -v7
	v_mov_b32_e32 v13, v56
	v_fmac_f32_e32 v12, 0x3f3504f3, v23
	v_fmac_f32_e32 v13, 0x3f3504f3, v22
	;; [unrolled: 1-line block ×3, first 2 shown]
	v_fma_f32 v4, v4, 2.0, -v22
	v_fma_f32 v22, v7, 2.0, -v52
	v_mul_f32_e32 v7, v48, v51
	v_fma_f32 v10, v10, 2.0, -v6
	v_sub_f32_e32 v60, v8, v5
	v_fmac_f32_e32 v13, 0xbf3504f3, v23
	v_fma_f32 v5, v6, 2.0, -v23
	v_mov_b32_e32 v23, v22
	v_mul_f32_e32 v6, v49, v51
	v_fmac_f32_e32 v7, v49, v50
	v_fma_f32 v49, v9, 2.0, -v56
	v_fma_f32 v1, v1, 2.0, -v2
	;; [unrolled: 1-line block ×3, first 2 shown]
	v_fmac_f32_e32 v23, 0xbf3504f3, v5
	v_fma_f32 v6, v48, v50, -v6
	v_mov_b32_e32 v50, v49
	v_sub_f32_e32 v62, v10, v2
	v_fmac_f32_e32 v23, 0x3f3504f3, v4
	v_mul_f32_e32 v48, v7, v47
	v_fmac_f32_e32 v50, 0xbf3504f3, v4
	v_mul_f32_e32 v4, v6, v47
	v_fma_f32 v48, v46, v6, -v48
	v_fmac_f32_e32 v4, v46, v7
	v_fma_f32 v46, v8, 2.0, -v60
	v_fma_f32 v6, v10, 2.0, -v62
	v_mul_f32_e32 v7, v42, v45
	v_sub_f32_e32 v47, v46, v6
	v_mul_f32_e32 v6, v43, v45
	v_fmac_f32_e32 v7, v43, v44
	v_sub_f32_e32 v58, v59, v0
	v_sub_f32_e32 v61, v11, v1
	v_fma_f32 v6, v42, v44, -v6
	v_mul_f32_e32 v8, v7, v41
	v_fma_f32 v8, v40, v6, -v8
	v_fma_f32 v42, v11, 2.0, -v61
	v_fma_f32 v9, v59, 2.0, -v58
	v_mul_f32_e32 v6, v6, v41
	v_sub_f32_e32 v43, v42, v9
	v_fmac_f32_e32 v6, v40, v7
	v_mul_f32_e32 v9, v37, v39
	v_mul_f32_e32 v3, v13, v55
	;; [unrolled: 1-line block ×5, first 2 shown]
	v_fma_f32 v9, v36, v38, -v9
	v_mul_f32_e32 v10, v36, v39
	v_fmac_f32_e32 v3, v12, v57
	v_fma_f32 v2, v13, v57, -v0
	v_fmac_f32_e32 v7, v47, v8
	v_fma_f32 v6, v43, v8, -v6
	v_fma_f32 v8, v52, 2.0, -v12
	v_fmac_f32_e32 v10, v37, v38
	v_fma_f32 v12, v56, 2.0, -v13
	v_mul_f32_e32 v13, v9, v35
	v_mul_f32_e32 v11, v10, v35
	v_fmac_f32_e32 v13, v34, v10
	v_fma_f32 v11, v34, v9, -v11
	v_mul_f32_e32 v9, v12, v13
	v_fmac_f32_e32 v9, v8, v11
	v_mul_f32_e32 v8, v8, v13
	v_fma_f32 v8, v12, v11, -v8
	v_mul_f32_e32 v11, v31, v33
	v_mul_f32_e32 v12, v30, v33
	v_fma_f32 v11, v30, v32, -v11
	v_fmac_f32_e32 v12, v31, v32
	v_sub_f32_e32 v70, v61, v62
	v_mul_f32_e32 v13, v12, v29
	v_mul_f32_e32 v29, v11, v29
	v_add_f32_e32 v63, v60, v58
	v_fma_f32 v30, v61, 2.0, -v70
	v_fmac_f32_e32 v29, v28, v12
	v_fma_f32 v10, v60, 2.0, -v63
	v_fma_f32 v13, v28, v11, -v13
	v_mul_f32_e32 v11, v30, v29
	v_fmac_f32_e32 v11, v10, v13
	v_mul_f32_e32 v10, v10, v29
	v_fma_f32 v10, v30, v13, -v10
	v_mul_f32_e32 v13, v20, v27
	v_mul_f32_e32 v12, v21, v27
	v_fmac_f32_e32 v13, v21, v26
	v_fma_f32 v12, v20, v26, -v12
	v_mul_f32_e32 v20, v13, v25
	v_fmac_f32_e32 v50, 0xbf3504f3, v5
	v_fma_f32 v20, v24, v12, -v20
	v_mul_f32_e32 v12, v12, v25
	v_fma_f32 v21, v22, 2.0, -v23
	v_fmac_f32_e32 v12, v24, v13
	v_fma_f32 v22, v49, 2.0, -v50
	v_mul_f32_e32 v13, v22, v12
	v_fmac_f32_e32 v13, v21, v20
	v_mul_f32_e32 v12, v21, v12
	v_mul_f32_e32 v21, v17, v19
	v_fma_f32 v21, v16, v18, -v21
	v_mul_f32_e32 v16, v16, v19
	v_fmac_f32_e32 v16, v17, v18
	v_mul_f32_e32 v19, v21, v15
	v_fma_f32 v12, v22, v20, -v12
	v_fma_f32 v20, v46, 2.0, -v47
	v_mul_f32_e32 v17, v16, v15
	v_fma_f32 v18, v42, 2.0, -v43
	v_fmac_f32_e32 v19, v14, v16
	v_fma_f32 v17, v14, v21, -v17
	v_mul_f32_e32 v15, v18, v19
	v_mul_f32_e32 v14, v20, v19
	;; [unrolled: 1-line block ×6, first 2 shown]
	v_fmac_f32_e32 v15, v20, v17
	v_fma_f32 v14, v18, v17, -v14
	v_fmac_f32_e32 v1, v63, v54
	v_fma_f32 v0, v70, v54, -v0
	;; [unrolled: 2-line block ×3, first 2 shown]
	ds_write_b64 v69, v[14:15]
	ds_write2_b64 v68, v[12:13], v[10:11] offset0:42 offset1:84
	ds_write2_b64 v68, v[8:9], v[6:7] offset0:126 offset1:168
	;; [unrolled: 1-line block ×3, first 2 shown]
	ds_write_b64 v68, v[2:3] offset:2352
.LBB0_24:
	s_or_b64 exec, exec, s[6:7]
	s_waitcnt lgkmcnt(0)
	s_barrier
	s_and_saveexec_b64 s[6:7], s[0:1]
	s_cbranch_execz .LBB0_26
; %bb.25:
	v_mad_u64_u32 v[4:5], s[0:1], s18, v66, 0
	v_mad_u64_u32 v[6:7], s[0:1], s16, v64, 0
	v_mov_b32_e32 v0, v5
	v_mad_u64_u32 v[0:1], s[0:1], s19, v66, v[0:1]
	v_mov_b32_e32 v1, v7
	v_mad_u64_u32 v[1:2], s[0:1], s17, v64, v[1:2]
	s_movk_i32 s0, 0xa80
	v_mul_lo_u32 v2, v66, s0
	v_mov_b32_e32 v5, v0
	s_lshl_b64 s[0:1], s[4:5], 3
	s_add_u32 s0, s2, s0
	v_lshlrev_b64 v[4:5], 3, v[4:5]
	s_addc_u32 s1, s3, s1
	v_mov_b32_e32 v7, v1
	v_mov_b32_e32 v8, s1
	v_add_co_u32_e32 v11, vcc, s0, v4
	v_addc_co_u32_e32 v12, vcc, v8, v5, vcc
	v_lshlrev_b64 v[4:5], 3, v[6:7]
	v_mad_u64_u32 v[6:7], s[0:1], s16, v65, 0
	v_add3_u32 v10, 0, v2, v67
	ds_read2_b64 v[0:3], v10 offset1:56
	v_mad_u64_u32 v[7:8], s[0:1], s17, v65, v[7:8]
	v_add_u32_e32 v13, 0x70, v64
	v_mad_u64_u32 v[8:9], s[0:1], s16, v13, 0
	v_add_co_u32_e32 v4, vcc, v11, v4
	v_addc_co_u32_e32 v5, vcc, v12, v5, vcc
	s_waitcnt lgkmcnt(0)
	global_store_dwordx2 v[4:5], v[0:1], off
	v_mov_b32_e32 v4, v9
	v_mad_u64_u32 v[4:5], s[0:1], s17, v13, v[4:5]
	v_lshlrev_b64 v[0:1], 3, v[6:7]
	v_add_u32_e32 v13, 0xe0, v64
	v_mov_b32_e32 v9, v4
	v_lshlrev_b64 v[4:5], 3, v[8:9]
	v_add_u32_e32 v8, 0xa8, v64
	v_mad_u64_u32 v[6:7], s[0:1], s16, v8, 0
	v_add_co_u32_e32 v0, vcc, v11, v0
	v_addc_co_u32_e32 v1, vcc, v12, v1, vcc
	global_store_dwordx2 v[0:1], v[2:3], off
	ds_read2_b64 v[0:3], v10 offset0:112 offset1:168
	v_mad_u64_u32 v[7:8], s[0:1], s17, v8, v[7:8]
	v_mad_u64_u32 v[8:9], s[0:1], s16, v13, 0
	v_add_co_u32_e32 v4, vcc, v11, v4
	v_addc_co_u32_e32 v5, vcc, v12, v5, vcc
	s_waitcnt lgkmcnt(0)
	global_store_dwordx2 v[4:5], v[0:1], off
	v_mov_b32_e32 v4, v9
	v_mad_u64_u32 v[4:5], s[0:1], s17, v13, v[4:5]
	v_lshlrev_b64 v[0:1], 3, v[6:7]
	v_add_u32_e32 v13, 0x118, v64
	v_add_co_u32_e32 v0, vcc, v11, v0
	v_mov_b32_e32 v9, v4
	v_mad_u64_u32 v[4:5], s[0:1], s16, v13, 0
	v_addc_co_u32_e32 v1, vcc, v12, v1, vcc
	global_store_dwordx2 v[0:1], v[2:3], off
	v_add_u32_e32 v0, 0x400, v10
	v_lshlrev_b64 v[6:7], 3, v[8:9]
	ds_read2_b64 v[0:3], v0 offset0:96 offset1:152
	v_mad_u64_u32 v[8:9], s[0:1], s17, v13, v[5:6]
	v_add_co_u32_e32 v5, vcc, v11, v6
	v_addc_co_u32_e32 v6, vcc, v12, v7, vcc
	s_waitcnt lgkmcnt(0)
	global_store_dwordx2 v[5:6], v[0:1], off
	v_mov_b32_e32 v5, v8
	v_lshlrev_b64 v[0:1], 3, v[4:5]
	v_add_co_u32_e32 v0, vcc, v11, v0
	v_addc_co_u32_e32 v1, vcc, v12, v1, vcc
	global_store_dwordx2 v[0:1], v[2:3], off
.LBB0_26:
	s_endpgm
	.section	.rodata,"a",@progbits
	.p2align	6, 0x0
	.amdhsa_kernel fft_rtc_fwd_len336_factors_6_7_8_wgs_336_tpt_56_sp_ip_CI_sbcc_twdbase6_3step
		.amdhsa_group_segment_fixed_size 0
		.amdhsa_private_segment_fixed_size 0
		.amdhsa_kernarg_size 96
		.amdhsa_user_sgpr_count 6
		.amdhsa_user_sgpr_private_segment_buffer 1
		.amdhsa_user_sgpr_dispatch_ptr 0
		.amdhsa_user_sgpr_queue_ptr 0
		.amdhsa_user_sgpr_kernarg_segment_ptr 1
		.amdhsa_user_sgpr_dispatch_id 0
		.amdhsa_user_sgpr_flat_scratch_init 0
		.amdhsa_user_sgpr_private_segment_size 0
		.amdhsa_uses_dynamic_stack 0
		.amdhsa_system_sgpr_private_segment_wavefront_offset 0
		.amdhsa_system_sgpr_workgroup_id_x 1
		.amdhsa_system_sgpr_workgroup_id_y 0
		.amdhsa_system_sgpr_workgroup_id_z 0
		.amdhsa_system_sgpr_workgroup_info 0
		.amdhsa_system_vgpr_workitem_id 0
		.amdhsa_next_free_vgpr 83
		.amdhsa_next_free_sgpr 43
		.amdhsa_reserve_vcc 1
		.amdhsa_reserve_flat_scratch 0
		.amdhsa_float_round_mode_32 0
		.amdhsa_float_round_mode_16_64 0
		.amdhsa_float_denorm_mode_32 3
		.amdhsa_float_denorm_mode_16_64 3
		.amdhsa_dx10_clamp 1
		.amdhsa_ieee_mode 1
		.amdhsa_fp16_overflow 0
		.amdhsa_exception_fp_ieee_invalid_op 0
		.amdhsa_exception_fp_denorm_src 0
		.amdhsa_exception_fp_ieee_div_zero 0
		.amdhsa_exception_fp_ieee_overflow 0
		.amdhsa_exception_fp_ieee_underflow 0
		.amdhsa_exception_fp_ieee_inexact 0
		.amdhsa_exception_int_div_zero 0
	.end_amdhsa_kernel
	.text
.Lfunc_end0:
	.size	fft_rtc_fwd_len336_factors_6_7_8_wgs_336_tpt_56_sp_ip_CI_sbcc_twdbase6_3step, .Lfunc_end0-fft_rtc_fwd_len336_factors_6_7_8_wgs_336_tpt_56_sp_ip_CI_sbcc_twdbase6_3step
                                        ; -- End function
	.section	.AMDGPU.csdata,"",@progbits
; Kernel info:
; codeLenInByte = 5836
; NumSgprs: 47
; NumVgprs: 83
; ScratchSize: 0
; MemoryBound: 0
; FloatMode: 240
; IeeeMode: 1
; LDSByteSize: 0 bytes/workgroup (compile time only)
; SGPRBlocks: 5
; VGPRBlocks: 20
; NumSGPRsForWavesPerEU: 47
; NumVGPRsForWavesPerEU: 83
; Occupancy: 3
; WaveLimiterHint : 1
; COMPUTE_PGM_RSRC2:SCRATCH_EN: 0
; COMPUTE_PGM_RSRC2:USER_SGPR: 6
; COMPUTE_PGM_RSRC2:TRAP_HANDLER: 0
; COMPUTE_PGM_RSRC2:TGID_X_EN: 1
; COMPUTE_PGM_RSRC2:TGID_Y_EN: 0
; COMPUTE_PGM_RSRC2:TGID_Z_EN: 0
; COMPUTE_PGM_RSRC2:TIDIG_COMP_CNT: 0
	.type	__hip_cuid_368e908abd2c8203,@object ; @__hip_cuid_368e908abd2c8203
	.section	.bss,"aw",@nobits
	.globl	__hip_cuid_368e908abd2c8203
__hip_cuid_368e908abd2c8203:
	.byte	0                               ; 0x0
	.size	__hip_cuid_368e908abd2c8203, 1

	.ident	"AMD clang version 19.0.0git (https://github.com/RadeonOpenCompute/llvm-project roc-6.4.0 25133 c7fe45cf4b819c5991fe208aaa96edf142730f1d)"
	.section	".note.GNU-stack","",@progbits
	.addrsig
	.addrsig_sym __hip_cuid_368e908abd2c8203
	.amdgpu_metadata
---
amdhsa.kernels:
  - .args:
      - .actual_access:  read_only
        .address_space:  global
        .offset:         0
        .size:           8
        .value_kind:     global_buffer
      - .address_space:  global
        .offset:         8
        .size:           8
        .value_kind:     global_buffer
      - .offset:         16
        .size:           8
        .value_kind:     by_value
      - .actual_access:  read_only
        .address_space:  global
        .offset:         24
        .size:           8
        .value_kind:     global_buffer
      - .actual_access:  read_only
        .address_space:  global
        .offset:         32
        .size:           8
        .value_kind:     global_buffer
      - .offset:         40
        .size:           8
        .value_kind:     by_value
      - .actual_access:  read_only
        .address_space:  global
        .offset:         48
        .size:           8
        .value_kind:     global_buffer
      - .actual_access:  read_only
        .address_space:  global
        .offset:         56
        .size:           8
        .value_kind:     global_buffer
      - .offset:         64
        .size:           4
        .value_kind:     by_value
      - .actual_access:  read_only
        .address_space:  global
        .offset:         72
        .size:           8
        .value_kind:     global_buffer
      - .actual_access:  read_only
        .address_space:  global
        .offset:         80
        .size:           8
        .value_kind:     global_buffer
      - .address_space:  global
        .offset:         88
        .size:           8
        .value_kind:     global_buffer
    .group_segment_fixed_size: 0
    .kernarg_segment_align: 8
    .kernarg_segment_size: 96
    .language:       OpenCL C
    .language_version:
      - 2
      - 0
    .max_flat_workgroup_size: 336
    .name:           fft_rtc_fwd_len336_factors_6_7_8_wgs_336_tpt_56_sp_ip_CI_sbcc_twdbase6_3step
    .private_segment_fixed_size: 0
    .sgpr_count:     47
    .sgpr_spill_count: 0
    .symbol:         fft_rtc_fwd_len336_factors_6_7_8_wgs_336_tpt_56_sp_ip_CI_sbcc_twdbase6_3step.kd
    .uniform_work_group_size: 1
    .uses_dynamic_stack: false
    .vgpr_count:     83
    .vgpr_spill_count: 0
    .wavefront_size: 64
amdhsa.target:   amdgcn-amd-amdhsa--gfx906
amdhsa.version:
  - 1
  - 2
...

	.end_amdgpu_metadata
